;; amdgpu-corpus repo=ROCm/rocFFT kind=compiled arch=gfx950 opt=O3
	.text
	.amdgcn_target "amdgcn-amd-amdhsa--gfx950"
	.amdhsa_code_object_version 6
	.protected	fft_rtc_back_len176_factors_11_16_wgs_64_tpt_16_halfLds_sp_ip_CI_sbrr_dirReg ; -- Begin function fft_rtc_back_len176_factors_11_16_wgs_64_tpt_16_halfLds_sp_ip_CI_sbrr_dirReg
	.globl	fft_rtc_back_len176_factors_11_16_wgs_64_tpt_16_halfLds_sp_ip_CI_sbrr_dirReg
	.p2align	8
	.type	fft_rtc_back_len176_factors_11_16_wgs_64_tpt_16_halfLds_sp_ip_CI_sbrr_dirReg,@function
fft_rtc_back_len176_factors_11_16_wgs_64_tpt_16_halfLds_sp_ip_CI_sbrr_dirReg: ; @fft_rtc_back_len176_factors_11_16_wgs_64_tpt_16_halfLds_sp_ip_CI_sbrr_dirReg
; %bb.0:
	s_load_dwordx2 s[12:13], s[0:1], 0x18
	s_load_dwordx4 s[4:7], s[0:1], 0x0
	s_load_dwordx2 s[10:11], s[0:1], 0x50
	v_lshrrev_b32_e32 v32, 4, v0
	v_lshl_or_b32 v6, s2, 2, v32
	s_waitcnt lgkmcnt(0)
	s_load_dwordx2 s[8:9], s[12:13], 0x0
	v_mov_b32_e32 v4, 0
	v_cmp_lt_u64_e64 s[2:3], s[6:7], 2
	v_mov_b32_e32 v7, v4
	s_and_b64 vcc, exec, s[2:3]
	v_mov_b64_e32 v[2:3], 0
	s_cbranch_vccnz .LBB0_8
; %bb.1:
	s_load_dwordx2 s[2:3], s[0:1], 0x10
	s_add_u32 s14, s12, 8
	s_addc_u32 s15, s13, 0
	s_mov_b64 s[16:17], 1
	v_mov_b64_e32 v[2:3], 0
	s_waitcnt lgkmcnt(0)
	s_add_u32 s18, s2, 8
	s_addc_u32 s19, s3, 0
.LBB0_2:                                ; =>This Inner Loop Header: Depth=1
	s_load_dwordx2 s[20:21], s[18:19], 0x0
                                        ; implicit-def: $vgpr8_vgpr9
	s_waitcnt lgkmcnt(0)
	v_or_b32_e32 v5, s21, v7
	v_cmp_ne_u64_e32 vcc, 0, v[4:5]
	s_and_saveexec_b64 s[2:3], vcc
	s_xor_b64 s[22:23], exec, s[2:3]
	s_cbranch_execz .LBB0_4
; %bb.3:                                ;   in Loop: Header=BB0_2 Depth=1
	v_cvt_f32_u32_e32 v1, s20
	v_cvt_f32_u32_e32 v5, s21
	s_sub_u32 s2, 0, s20
	s_subb_u32 s3, 0, s21
	v_fmac_f32_e32 v1, 0x4f800000, v5
	v_rcp_f32_e32 v1, v1
	s_nop 0
	v_mul_f32_e32 v1, 0x5f7ffffc, v1
	v_mul_f32_e32 v5, 0x2f800000, v1
	v_trunc_f32_e32 v5, v5
	v_fmac_f32_e32 v1, 0xcf800000, v5
	v_cvt_u32_f32_e32 v5, v5
	v_cvt_u32_f32_e32 v1, v1
	v_mul_lo_u32 v8, s2, v5
	v_mul_hi_u32 v10, s2, v1
	v_mul_lo_u32 v9, s3, v1
	v_add_u32_e32 v10, v10, v8
	v_mul_lo_u32 v12, s2, v1
	v_add_u32_e32 v13, v10, v9
	v_mul_hi_u32 v8, v1, v12
	v_mul_hi_u32 v11, v1, v13
	v_mul_lo_u32 v10, v1, v13
	v_mov_b32_e32 v9, v4
	v_lshl_add_u64 v[8:9], v[8:9], 0, v[10:11]
	v_mul_hi_u32 v11, v5, v12
	v_mul_lo_u32 v12, v5, v12
	v_add_co_u32_e32 v8, vcc, v8, v12
	v_mul_hi_u32 v10, v5, v13
	s_nop 0
	v_addc_co_u32_e32 v8, vcc, v9, v11, vcc
	v_mov_b32_e32 v9, v4
	s_nop 0
	v_addc_co_u32_e32 v11, vcc, 0, v10, vcc
	v_mul_lo_u32 v10, v5, v13
	v_lshl_add_u64 v[8:9], v[8:9], 0, v[10:11]
	v_add_co_u32_e32 v1, vcc, v1, v8
	v_mul_lo_u32 v10, s2, v1
	s_nop 0
	v_addc_co_u32_e32 v5, vcc, v5, v9, vcc
	v_mul_lo_u32 v8, s2, v5
	v_mul_hi_u32 v9, s2, v1
	v_add_u32_e32 v8, v9, v8
	v_mul_lo_u32 v9, s3, v1
	v_add_u32_e32 v12, v8, v9
	v_mul_hi_u32 v14, v5, v10
	v_mul_lo_u32 v15, v5, v10
	v_mul_hi_u32 v9, v1, v12
	v_mul_lo_u32 v8, v1, v12
	v_mul_hi_u32 v10, v1, v10
	v_mov_b32_e32 v11, v4
	v_lshl_add_u64 v[8:9], v[10:11], 0, v[8:9]
	v_add_co_u32_e32 v8, vcc, v8, v15
	v_mul_hi_u32 v13, v5, v12
	s_nop 0
	v_addc_co_u32_e32 v8, vcc, v9, v14, vcc
	v_mul_lo_u32 v10, v5, v12
	s_nop 0
	v_addc_co_u32_e32 v11, vcc, 0, v13, vcc
	v_mov_b32_e32 v9, v4
	v_lshl_add_u64 v[8:9], v[8:9], 0, v[10:11]
	v_add_co_u32_e32 v1, vcc, v1, v8
	v_mul_hi_u32 v10, v6, v1
	s_nop 0
	v_addc_co_u32_e32 v5, vcc, v5, v9, vcc
	v_mad_u64_u32 v[8:9], s[2:3], v6, v5, 0
	v_mov_b32_e32 v11, v4
	v_lshl_add_u64 v[8:9], v[10:11], 0, v[8:9]
	v_mad_u64_u32 v[12:13], s[2:3], v7, v1, 0
	v_add_co_u32_e32 v1, vcc, v8, v12
	v_mad_u64_u32 v[10:11], s[2:3], v7, v5, 0
	s_nop 0
	v_addc_co_u32_e32 v8, vcc, v9, v13, vcc
	v_mov_b32_e32 v9, v4
	s_nop 0
	v_addc_co_u32_e32 v11, vcc, 0, v11, vcc
	v_lshl_add_u64 v[8:9], v[8:9], 0, v[10:11]
	v_mul_lo_u32 v1, s21, v8
	v_mul_lo_u32 v5, s20, v9
	v_mad_u64_u32 v[10:11], s[2:3], s20, v8, 0
	v_add3_u32 v1, v11, v5, v1
	v_sub_u32_e32 v5, v7, v1
	v_mov_b32_e32 v11, s21
	v_sub_co_u32_e32 v14, vcc, v6, v10
	v_lshl_add_u64 v[12:13], v[8:9], 0, 1
	s_nop 0
	v_subb_co_u32_e64 v5, s[2:3], v5, v11, vcc
	v_subrev_co_u32_e64 v10, s[2:3], s20, v14
	v_subb_co_u32_e32 v1, vcc, v7, v1, vcc
	s_nop 0
	v_subbrev_co_u32_e64 v5, s[2:3], 0, v5, s[2:3]
	v_cmp_le_u32_e64 s[2:3], s21, v5
	v_cmp_le_u32_e32 vcc, s21, v1
	s_nop 0
	v_cndmask_b32_e64 v11, 0, -1, s[2:3]
	v_cmp_le_u32_e64 s[2:3], s20, v10
	s_nop 1
	v_cndmask_b32_e64 v10, 0, -1, s[2:3]
	v_cmp_eq_u32_e64 s[2:3], s21, v5
	s_nop 1
	v_cndmask_b32_e64 v5, v11, v10, s[2:3]
	v_lshl_add_u64 v[10:11], v[8:9], 0, 2
	v_cmp_ne_u32_e64 s[2:3], 0, v5
	s_nop 1
	v_cndmask_b32_e64 v5, v13, v11, s[2:3]
	v_cndmask_b32_e64 v11, 0, -1, vcc
	v_cmp_le_u32_e32 vcc, s20, v14
	s_nop 1
	v_cndmask_b32_e64 v13, 0, -1, vcc
	v_cmp_eq_u32_e32 vcc, s21, v1
	s_nop 1
	v_cndmask_b32_e32 v1, v11, v13, vcc
	v_cmp_ne_u32_e32 vcc, 0, v1
	v_cndmask_b32_e64 v1, v12, v10, s[2:3]
	s_nop 0
	v_cndmask_b32_e32 v9, v9, v5, vcc
	v_cndmask_b32_e32 v8, v8, v1, vcc
.LBB0_4:                                ;   in Loop: Header=BB0_2 Depth=1
	s_andn2_saveexec_b64 s[2:3], s[22:23]
	s_cbranch_execz .LBB0_6
; %bb.5:                                ;   in Loop: Header=BB0_2 Depth=1
	v_cvt_f32_u32_e32 v1, s20
	s_sub_i32 s22, 0, s20
	v_rcp_iflag_f32_e32 v1, v1
	s_nop 0
	v_mul_f32_e32 v1, 0x4f7ffffe, v1
	v_cvt_u32_f32_e32 v1, v1
	v_mul_lo_u32 v5, s22, v1
	v_mul_hi_u32 v5, v1, v5
	v_add_u32_e32 v1, v1, v5
	v_mul_hi_u32 v1, v6, v1
	v_mul_lo_u32 v5, v1, s20
	v_sub_u32_e32 v5, v6, v5
	v_add_u32_e32 v8, 1, v1
	v_subrev_u32_e32 v9, s20, v5
	v_cmp_le_u32_e32 vcc, s20, v5
	s_nop 1
	v_cndmask_b32_e32 v5, v5, v9, vcc
	v_cndmask_b32_e32 v1, v1, v8, vcc
	v_add_u32_e32 v8, 1, v1
	v_cmp_le_u32_e32 vcc, s20, v5
	v_mov_b32_e32 v9, v4
	s_nop 0
	v_cndmask_b32_e32 v8, v1, v8, vcc
.LBB0_6:                                ;   in Loop: Header=BB0_2 Depth=1
	s_or_b64 exec, exec, s[2:3]
	v_mad_u64_u32 v[10:11], s[2:3], v8, s20, 0
	s_load_dwordx2 s[2:3], s[14:15], 0x0
	v_mul_lo_u32 v1, v9, s20
	v_mul_lo_u32 v5, v8, s21
	v_add3_u32 v1, v11, v5, v1
	v_sub_co_u32_e32 v5, vcc, v6, v10
	s_add_u32 s16, s16, 1
	s_nop 0
	v_subb_co_u32_e32 v1, vcc, v7, v1, vcc
	s_addc_u32 s17, s17, 0
	s_waitcnt lgkmcnt(0)
	v_mul_lo_u32 v1, s2, v1
	v_mul_lo_u32 v6, s3, v5
	v_mad_u64_u32 v[2:3], s[2:3], s2, v5, v[2:3]
	s_add_u32 s14, s14, 8
	v_add3_u32 v3, v6, v3, v1
	s_addc_u32 s15, s15, 0
	v_mov_b64_e32 v[6:7], s[6:7]
	s_add_u32 s18, s18, 8
	v_cmp_ge_u64_e32 vcc, s[16:17], v[6:7]
	s_addc_u32 s19, s19, 0
	s_cbranch_vccnz .LBB0_9
; %bb.7:                                ;   in Loop: Header=BB0_2 Depth=1
	v_mov_b64_e32 v[6:7], v[8:9]
	s_branch .LBB0_2
.LBB0_8:
	v_mov_b64_e32 v[8:9], v[6:7]
.LBB0_9:
	s_lshl_b64 s[2:3], s[6:7], 3
	s_add_u32 s2, s12, s2
	s_addc_u32 s3, s13, s3
	s_load_dwordx2 s[6:7], s[2:3], 0x0
	s_load_dwordx2 s[12:13], s[0:1], 0x20
	v_and_b32_e32 v47, 15, v0
                                        ; implicit-def: $vgpr38
                                        ; implicit-def: $vgpr14
                                        ; implicit-def: $vgpr10
                                        ; implicit-def: $vgpr40
                                        ; implicit-def: $vgpr12
                                        ; implicit-def: $vgpr36
                                        ; implicit-def: $vgpr6
	s_waitcnt lgkmcnt(0)
	v_mul_lo_u32 v1, s6, v9
	v_mul_lo_u32 v4, s7, v8
	v_mad_u64_u32 v[2:3], s[0:1], s6, v8, v[2:3]
	v_add3_u32 v3, v4, v3, v1
	v_cmp_gt_u64_e32 vcc, s[12:13], v[8:9]
	v_mov_b64_e32 v[0:1], 0
	v_lshl_add_u64 v[16:17], v[2:3], 3, s[10:11]
                                        ; implicit-def: $vgpr8
                                        ; implicit-def: $vgpr2
                                        ; implicit-def: $vgpr4
	s_and_saveexec_b64 s[0:1], vcc
	s_cbranch_execz .LBB0_11
; %bb.10:
	v_mad_u64_u32 v[0:1], s[2:3], s8, v47, 0
	v_mov_b32_e32 v2, v1
	v_mad_u64_u32 v[2:3], s[2:3], s9, v47, v[2:3]
	v_mov_b32_e32 v1, v2
	v_or_b32_e32 v5, 16, v47
	v_lshl_add_u64 v[2:3], v[0:1], 3, v[16:17]
	v_mad_u64_u32 v[0:1], s[2:3], s8, v5, 0
	v_mov_b32_e32 v4, v1
	v_mad_u64_u32 v[4:5], s[2:3], s9, v5, v[4:5]
	v_mov_b32_e32 v1, v4
	v_or_b32_e32 v7, 32, v47
	v_lshl_add_u64 v[4:5], v[0:1], 3, v[16:17]
	;; [unrolled: 6-line block ×3, first 2 shown]
	v_mad_u64_u32 v[0:1], s[2:3], s8, v9, 0
	v_mov_b32_e32 v8, v1
	v_mad_u64_u32 v[8:9], s[2:3], s9, v9, v[8:9]
	v_mov_b32_e32 v1, v8
	v_lshl_add_u64 v[8:9], v[0:1], 3, v[16:17]
	global_load_dwordx2 v[0:1], v[2:3], off
	global_load_dwordx2 v[14:15], v[4:5], off
	;; [unrolled: 1-line block ×4, first 2 shown]
	v_or_b32_e32 v5, 64, v47
	v_mad_u64_u32 v[2:3], s[2:3], s8, v5, 0
	v_mov_b32_e32 v4, v3
	v_mad_u64_u32 v[4:5], s[2:3], s9, v5, v[4:5]
	v_mov_b32_e32 v3, v4
	v_or_b32_e32 v5, 0x50, v47
	v_lshl_add_u64 v[6:7], v[2:3], 3, v[16:17]
	v_mad_u64_u32 v[2:3], s[2:3], s8, v5, 0
	v_mov_b32_e32 v4, v3
	v_mad_u64_u32 v[4:5], s[2:3], s9, v5, v[4:5]
	v_mov_b32_e32 v3, v4
	v_or_b32_e32 v5, 0x60, v47
	v_lshl_add_u64 v[8:9], v[2:3], 3, v[16:17]
	v_mad_u64_u32 v[2:3], s[2:3], s8, v5, 0
	v_mov_b32_e32 v4, v3
	v_mad_u64_u32 v[4:5], s[2:3], s9, v5, v[4:5]
	v_mov_b32_e32 v3, v4
	v_or_b32_e32 v5, 0x70, v47
	v_lshl_add_u64 v[12:13], v[2:3], 3, v[16:17]
	v_mad_u64_u32 v[2:3], s[2:3], s8, v5, 0
	v_mov_b32_e32 v4, v3
	v_mad_u64_u32 v[4:5], s[2:3], s9, v5, v[4:5]
	v_mov_b32_e32 v3, v4
	v_lshl_add_u64 v[18:19], v[2:3], 3, v[16:17]
	global_load_dwordx2 v[2:3], v[6:7], off
	global_load_dwordx2 v[20:21], v[8:9], off
	;; [unrolled: 1-line block ×4, first 2 shown]
	v_or_b32_e32 v9, 0x80, v47
	v_mad_u64_u32 v[6:7], s[2:3], s8, v9, 0
	v_mov_b32_e32 v8, v7
	v_mad_u64_u32 v[8:9], s[2:3], s9, v9, v[8:9]
	v_or_b32_e32 v13, 0x90, v47
	v_mov_b32_e32 v7, v8
	v_mad_u64_u32 v[8:9], s[2:3], s8, v13, 0
	v_mov_b32_e32 v12, v9
	v_mad_u64_u32 v[12:13], s[2:3], s9, v13, v[12:13]
	v_or_b32_e32 v13, 0xa0, v47
	v_mad_u64_u32 v[18:19], s[2:3], s8, v13, 0
	v_mov_b32_e32 v9, v12
	v_mov_b32_e32 v12, v19
	v_mad_u64_u32 v[12:13], s[2:3], s9, v13, v[12:13]
	v_lshl_add_u64 v[6:7], v[6:7], 3, v[16:17]
	v_mov_b32_e32 v19, v12
	v_lshl_add_u64 v[8:9], v[8:9], 3, v[16:17]
	global_load_dwordx2 v[24:25], v[6:7], off
	global_load_dwordx2 v[12:13], v[8:9], off
	v_lshl_add_u64 v[6:7], v[18:19], 3, v[16:17]
	global_load_dwordx2 v[6:7], v[6:7], off
	s_waitcnt vmcnt(9)
	v_mov_b32_e32 v38, v15
	s_waitcnt vmcnt(7)
	v_mov_b32_e32 v39, v11
	v_mov_b32_e32 v15, v10
	s_waitcnt vmcnt(6)
	v_mov_b32_e32 v9, v2
	s_waitcnt vmcnt(5)
	;; [unrolled: 2-line block ×4, first 2 shown]
	v_mov_b32_e32 v11, v4
	v_mov_b32_e32 v2, v21
	;; [unrolled: 1-line block ×3, first 2 shown]
	s_waitcnt vmcnt(2)
	v_mov_b32_e32 v40, v24
	s_waitcnt vmcnt(1)
	v_mov_b32_e32 v41, v12
	v_mov_b32_e32 v12, v25
.LBB0_11:
	s_or_b64 exec, exec, s[0:1]
	s_mov_b32 s10, 0xbf75a155
	v_add_f32_e32 v18, v14, v0
	s_mov_b32 s11, 0xbf27a4f4
	v_pk_add_f32 v[26:27], v[8:9], v[10:11]
	s_mov_b32 s18, 0xbe903f40
	s_mov_b32 s19, s10
	v_add_f32_e32 v19, v36, v18
	s_waitcnt vmcnt(0)
	v_mov_b32_e32 v18, v7
	v_pk_add_f32 v[30:31], v[2:3], v[4:5] neg_lo:[0,1] neg_hi:[0,1]
	v_pk_mul_f32 v[44:45], v[26:27], s[18:19]
	v_pk_add_f32 v[20:21], v[38:39], v[18:19] op_sel_hi:[1,0] neg_lo:[0,1] neg_hi:[0,1]
	v_mov_b32_e32 v28, v31
	v_mov_b32_e32 v29, v27
	;; [unrolled: 1-line block ×3, first 2 shown]
	s_mov_b32 s6, 0x3e903f40
	s_mov_b32 s16, 0xbf0a6770
	v_pk_fma_f32 v[44:45], v[28:29], s[18:19], v[18:19]
	v_pk_fma_f32 v[28:29], v[28:29], s[18:19], v[18:19] neg_lo:[1,0,0] neg_hi:[1,0,0]
	v_mov_b32_e32 v18, v6
	s_mov_b32 s7, 0xbf4178ce
	v_mov_b32_e32 v22, v15
	v_mov_b32_e32 v23, v36
	;; [unrolled: 1-line block ×4, first 2 shown]
	s_mov_b32 s12, 0xbf7d64f0
	s_mov_b32 s17, 0x3f575c64
	v_pk_add_f32 v[18:19], v[14:15], v[18:19]
	v_pk_add_f32 v[22:23], v[22:23], v[40:41]
	v_pk_add_f32 v[24:25], v[24:25], v[12:13] neg_lo:[0,1] neg_hi:[0,1]
	s_mov_b32 s1, 0x3ed4b147
	s_mov_b32 s0, 0xbe11bafb
	;; [unrolled: 1-line block ×4, first 2 shown]
	v_mov_b32_e32 v56, v18
	v_mov_b32_e32 v57, v20
	s_mov_b32 s22, s17
	s_mov_b32 s23, s16
	v_pk_mul_f32 v[34:35], v[22:23], s[0:1]
	v_pk_mul_f32 v[42:43], v[24:25], s[12:13]
	s_mov_b32 s2, 0x3f7d64f0
	v_pk_mul_f32 v[48:49], v[26:27], s[10:11]
	v_pk_mul_f32 v[50:51], v[30:31], s[18:19]
	;; [unrolled: 1-line block ×3, first 2 shown]
	v_mov_b32_e32 v52, v51
	v_mov_b32_e32 v53, v42
	;; [unrolled: 1-line block ×4, first 2 shown]
	s_mov_b32 s20, 0x3f0a6770
	s_mov_b32 s21, s2
	v_mov_b32_e32 v60, v43
	v_mov_b32_e32 v61, v59
	;; [unrolled: 1-line block ×4, first 2 shown]
	v_pk_add_f32 v[52:53], v[52:53], v[54:55]
	v_pk_mul_f32 v[54:55], v[30:31], s[20:21]
	v_pk_add_f32 v[34:35], v[60:61], v[34:35]
	v_mov_b32_e32 v60, v25
	v_mov_b32_e32 v61, v20
	s_mov_b32 s21, s18
	v_add_f32_e32 v21, v35, v0
	v_pk_mul_f32 v[60:61], v[60:61], s[20:21]
	v_mov_b32_e32 v62, v23
	v_mov_b32_e32 v63, v18
	s_mov_b32 s18, s17
	s_mov_b32 s19, s10
	;; [unrolled: 1-line block ×4, first 2 shown]
	v_add_f32_e32 v21, v34, v21
	v_pk_fma_f32 v[34:35], v[62:63], s[18:19], v[60:61]
	v_mov_b32_e32 v64, v31
	v_add_f32_e32 v29, v35, v0
	v_mov_b32_e32 v65, v24
	v_pk_mul_f32 v[66:67], v[24:25], s[14:15]
	s_mov_b32 s15, s7
	v_add_f32_e32 v29, v34, v29
	v_mov_b32_e32 v34, v27
	v_mov_b32_e32 v35, v22
	s_mov_b32 s20, s1
	s_mov_b32 s21, s11
	v_pk_mul_f32 v[64:65], v[64:65], s[14:15]
	v_add_f32_e32 v21, v53, v21
	v_pk_fma_f32 v[68:69], v[34:35], s[20:21], v[64:65]
	v_add_f32_e32 v53, v52, v21
	v_add_f32_e32 v21, v69, v29
	v_add_f32_e32 v52, v68, v21
	v_mov_b32_e32 v68, 0xbf27a4f4
	v_mov_b32_e32 v69, v9
	v_pk_mul_f32 v[68:69], v[68:69], v[18:19]
	v_pk_add_f32 v[18:19], v[8:9], v[18:19]
	v_mul_f32_e32 v70, 0xbf4178ce, v20
	v_mov_b32_e32 v69, v19
	v_mov_b32_e32 v71, v8
	;; [unrolled: 1-line block ×4, first 2 shown]
	v_pk_add_f32 v[20:21], v[70:71], v[68:69]
	s_mov_b32 s3, s0
	v_pk_add_f32 v[18:19], v[18:19], v[20:21]
	v_pk_mul_f32 v[20:21], v[22:23], s[2:3]
	v_mov_b32_e32 v72, v25
	v_mov_b32_e32 v73, v23
	;; [unrolled: 1-line block ×3, first 2 shown]
	v_pk_fma_f32 v[20:21], v[72:73], s[2:3], v[46:47]
	v_mov_b32_e32 v74, v24
	v_mov_b32_e32 v21, v11
	;; [unrolled: 1-line block ×3, first 2 shown]
	v_pk_add_f32 v[18:19], v[20:21], v[18:19]
	v_pk_mul_f32 v[20:21], v[74:75], s[16:17]
	s_mov_b32 s22, s7
	v_mov_b32_e32 v76, v21
	v_pk_fma_f32 v[20:21], v[74:75], s[16:17], v[76:77]
	v_mov_b32_e32 v45, v41
	v_mov_b32_e32 v21, v40
	v_pk_add_f32 v[18:19], v[20:21], v[18:19]
	v_pk_mul_f32 v[20:21], v[30:31], s[22:23]
	v_mov_b32_e32 v31, v26
	s_mov_b32 s15, s1
	v_pk_add_f32 v[18:19], v[44:45], v[18:19]
	v_pk_mul_f32 v[44:45], v[30:31], s[14:15]
	s_mov_b32 s24, s17
	v_mov_b32_e32 v44, v45
	v_pk_fma_f32 v[78:79], v[30:31], s[14:15], v[44:45]
	s_mov_b32 s25, s0
	v_mov_b32_e32 v79, v6
	s_mov_b32 s26, s11
	s_mov_b32 s27, s17
	v_pk_add_f32 v[18:19], v[78:79], v[18:19]
	v_pk_fma_f32 v[78:79], v[22:23], s[0:1], v[42:43] neg_lo:[0,0,1] neg_hi:[0,0,1]
	s_mov_b32 s22, s1
	v_pk_fma_f32 v[80:81], v[26:27], s[26:27], v[20:21]
	v_pk_fma_f32 v[82:83], v[26:27], s[26:27], v[20:21] neg_lo:[0,0,1] neg_hi:[0,0,1]
	s_mov_b32 s26, s1
	s_mov_b32 s1, s12
	v_pk_fma_f32 v[84:85], v[26:27], s[10:11], v[50:51] neg_lo:[0,0,1] neg_hi:[0,0,1]
	v_pk_mul_f32 v[42:43], v[26:27], s[24:25]
	v_pk_fma_f32 v[86:87], v[26:27], s[24:25], v[54:55]
	v_pk_fma_f32 v[88:89], v[26:27], s[24:25], v[54:55] neg_lo:[0,0,1] neg_hi:[0,0,1]
	v_mov_b32_e32 v27, v30
	v_mov_b32_e32 v21, v50
	v_pk_mul_f32 v[50:51], v[26:27], s[0:1]
	v_mov_b32_e32 v49, v48
	v_mov_b32_e32 v20, v51
	v_mov_b32_e32 v48, v50
	v_pk_add_f32 v[20:21], v[20:21], v[48:49]
	v_pk_mul_f32 v[24:25], v[24:25], s[6:7]
	v_mov_b32_e32 v48, v55
	v_pk_mul_f32 v[54:55], v[22:23], s[10:11]
	v_pk_add_f32 v[20:21], v[20:21], v[52:53]
	v_mov_b32_e32 v49, v24
	v_mov_b32_e32 v52, v43
	;; [unrolled: 1-line block ×3, first 2 shown]
	s_mov_b32 s27, s13
	v_pk_add_f32 v[48:49], v[48:49], v[52:53]
	v_pk_mul_f32 v[52:53], v[56:57], s[26:27]
	v_pk_fma_f32 v[34:35], v[34:35], s[20:21], v[64:65] neg_lo:[0,0,1] neg_hi:[0,0,1]
	v_mov_b32_e32 v64, v25
	v_mov_b32_e32 v65, v53
	;; [unrolled: 1-line block ×4, first 2 shown]
	v_pk_add_f32 v[54:55], v[64:65], v[54:55]
	v_pk_fma_f32 v[60:61], v[62:63], s[18:19], v[60:61] neg_lo:[0,0,1] neg_hi:[0,0,1]
	v_add_f32_e32 v29, v55, v0
	v_add_f32_e32 v43, v61, v0
	s_mov_b32 s23, s10
	v_pk_mul_f32 v[56:57], v[56:57], s[0:1]
	v_add_f32_e32 v29, v54, v29
	v_add_f32_e32 v43, v60, v43
	v_pk_fma_f32 v[24:25], v[22:23], s[10:11], v[24:25] neg_lo:[0,0,1] neg_hi:[0,0,1]
	v_pk_fma_f32 v[54:55], v[22:23], s[22:23], v[66:67]
	v_pk_fma_f32 v[60:61], v[22:23], s[22:23], v[66:67] neg_lo:[0,0,1] neg_hi:[0,0,1]
	v_add_f32_e32 v22, v57, v56
	v_add_f32_e32 v29, v49, v29
	;; [unrolled: 1-line block ×6, first 2 shown]
	v_mov_b32_e32 v69, v56
	v_mov_b32_e32 v71, v57
	v_add_f32_e32 v48, v34, v29
	v_pk_fma_f32 v[34:35], v[72:73], s[2:3], v[46:47] neg_lo:[1,0,0] neg_hi:[1,0,0]
	v_add_f32_e32 v29, v54, v22
	v_pk_fma_f32 v[30:31], v[30:31], s[14:15], v[44:45] neg_lo:[1,0,0] neg_hi:[1,0,0]
	v_mov_b32_e32 v22, v51
	v_pk_add_f32 v[44:45], v[68:69], v[70:71] neg_lo:[0,1] neg_hi:[0,1]
	v_pk_fma_f32 v[62:63], v[74:75], s[16:17], v[76:77] neg_lo:[1,0,0] neg_hi:[1,0,0]
	v_pk_fma_f32 v[22:23], v[26:27], s[0:1], v[22:23] neg_lo:[0,0,1] neg_hi:[0,0,1]
	v_pk_add_f32 v[44:45], v[44:45], v[0:1] op_sel_hi:[1,0]
	v_mov_b32_e32 v35, v61
	v_mov_b32_e32 v23, v86
	v_pk_add_f32 v[34:35], v[34:35], v[44:45]
	v_mov_b32_e32 v63, v60
	v_pk_add_f32 v[26:27], v[22:23], v[48:49]
	v_add_f32_e32 v22, v81, v29
	v_pk_add_f32 v[34:35], v[62:63], v[34:35]
	v_mov_b32_e32 v29, v83
	v_pk_add_f32 v[28:29], v[28:29], v[34:35]
	v_mov_b32_e32 v31, v82
	;; [unrolled: 2-line block ×3, first 2 shown]
	v_mov_b32_e32 v31, v58
	v_mov_b32_e32 v58, v53
	v_pk_add_f32 v[30:31], v[30:31], v[58:59] neg_lo:[0,1] neg_hi:[0,1]
	v_mov_b32_e32 v34, v25
	v_pk_add_f32 v[30:31], v[30:31], v[0:1] op_sel_hi:[1,0]
	v_mov_b32_e32 v35, v79
	v_pk_add_f32 v[30:31], v[34:35], v[30:31]
	v_mov_b32_e32 v25, v78
	v_pk_add_f32 v[24:25], v[24:25], v[30:31]
	v_mov_b32_e32 v30, v89
	v_mov_b32_e32 v31, v85
	v_mul_u32_u24_e32 v32, 0xb0, v32
	v_mad_u32_u24 v33, v47, 44, 0
	v_pk_add_f32 v[24:25], v[30:31], v[24:25]
	v_mov_b32_e32 v89, v84
	v_lshl_add_u32 v42, v32, 2, v33
	v_add_f32_e32 v23, v80, v22
	v_mov_b32_e32 v22, v27
	v_pk_add_f32 v[50:51], v[88:89], v[24:25]
	v_cmp_gt_u32_e64 s[0:1], 11, v47
	v_cmp_lt_u32_e64 s[2:3], 10, v47
	ds_write2_b32 v42, v19, v21 offset1:1
	ds_write2_b32 v42, v18, v20 offset0:4 offset1:5
	ds_write2_b32 v42, v27, v23 offset0:2 offset1:3
	ds_write_b32 v42, v26 offset:24
	ds_write2_b32 v42, v28, v29 offset0:7 offset1:8
	ds_write2_b32 v42, v50, v51 offset0:9 offset1:10
	s_waitcnt lgkmcnt(0)
	; wave barrier
	s_waitcnt lgkmcnt(0)
                                        ; implicit-def: $vgpr34_vgpr35
	s_and_saveexec_b64 s[6:7], s[2:3]
	s_xor_b64 s[6:7], exec, s[6:7]
; %bb.12:
	v_mov_b32_e32 v22, v28
	v_mov_b64_e32 v[34:35], v[50:51]
                                        ; implicit-def: $vgpr33
; %bb.13:
	s_or_saveexec_b64 s[6:7], s[6:7]
	v_lshlrev_b32_e32 v31, 2, v32
	v_lshlrev_b32_e32 v43, 2, v47
                                        ; implicit-def: $vgpr30
                                        ; implicit-def: $vgpr32
                                        ; implicit-def: $vgpr24
	s_xor_b64 exec, exec, s[6:7]
	s_cbranch_execz .LBB0_15
; %bb.14:
	v_mul_i32_i24_e32 v19, 0xffffffd8, v47
	v_add3_u32 v26, v33, v19, v31
	v_add3_u32 v18, 0, v31, v43
	ds_read2_b32 v[44:45], v26 offset0:11 offset1:22
	ds_read2_b32 v[48:49], v26 offset0:33 offset1:44
	;; [unrolled: 1-line block ×7, first 2 shown]
	ds_read_b32 v19, v18
	ds_read_b32 v30, v26 offset:660
	s_waitcnt lgkmcnt(6)
	v_mov_b32_e32 v26, v21
	v_mov_b32_e32 v27, v45
	s_waitcnt lgkmcnt(2)
	v_mov_b32_e32 v34, v25
	v_mov_b32_e32 v35, v51
	;; [unrolled: 1-line block ×7, first 2 shown]
.LBB0_15:
	s_or_b64 exec, exec, s[6:7]
	v_add_f32_e32 v25, v38, v1
	v_add_f32_e32 v45, v37, v25
	v_pk_add_f32 v[48:49], v[36:37], v[12:13]
	v_mov_b32_e32 v44, v7
	v_mov_b32_e32 v37, v14
	;; [unrolled: 1-line block ×4, first 2 shown]
	s_mov_b32 s12, 0x3f0a6770
	v_pk_add_f32 v[44:45], v[38:39], v[44:45]
	v_pk_add_f32 v[36:37], v[36:37], v[60:61] neg_lo:[0,1] neg_hi:[0,1]
	s_mov_b32 s13, 0xbe903f40
	s_mov_b32 s14, 0x3f575c64
	v_pk_mul_f32 v[60:61], v[36:37], s[12:13]
	v_mov_b32_e32 v62, v49
	v_mov_b32_e32 v63, v44
	s_mov_b32 s15, 0xbf75a155
	v_pk_fma_f32 v[64:65], v[62:63], s[14:15], v[60:61] neg_lo:[0,0,1] neg_hi:[0,0,1]
	v_pk_fma_f32 v[60:61], v[62:63], s[14:15], v[60:61]
	s_mov_b32 s16, 0x3f68dda4
	v_add_f32_e32 v14, v61, v1
	s_mov_b32 s6, 0x3ed4b147
	v_add_f32_e32 v25, v60, v14
	v_mov_b32_e32 v38, v3
	v_mov_b32_e32 v60, v5
	v_mov_b32_e32 v61, v12
	s_mov_b32 s17, 0xbf4178ce
	s_mov_b32 s20, 0xbf68dda4
	;; [unrolled: 1-line block ×3, first 2 shown]
	v_pk_add_f32 v[38:39], v[38:39], v[60:61]
	v_mov_b32_e32 v14, v9
	v_mov_b32_e32 v60, v11
	;; [unrolled: 1-line block ×3, first 2 shown]
	s_mov_b32 s22, s17
	s_mov_b32 s23, s20
	;; [unrolled: 1-line block ×3, first 2 shown]
	v_add_f32_e32 v6, v65, v1
	v_pk_add_f32 v[14:15], v[14:15], v[60:61] neg_lo:[0,1] neg_hi:[0,1]
	s_mov_b32 s18, s7
	s_mov_b32 s19, s6
	v_pk_mul_f32 v[66:67], v[36:37], s[22:23] op_sel_hi:[0,1]
	v_add_f32_e32 v6, v64, v6
	v_pk_mul_f32 v[40:41], v[14:15], s[16:17]
	v_pk_mul_f32 v[64:65], v[48:49], s[18:19] op_sel:[1,0]
	v_pk_fma_f32 v[68:69], v[48:49], s[18:19], v[66:67] op_sel:[1,0,0]
	s_mov_b32 s10, s15
	s_mov_b32 s19, 0xbf7d64f0
	;; [unrolled: 1-line block ×7, first 2 shown]
	v_pk_fma_f32 v[60:61], v[38:39], s[6:7], v[40:41]
	v_pk_fma_f32 v[40:41], v[38:39], s[6:7], v[40:41] neg_lo:[0,0,1] neg_hi:[0,0,1]
	v_pk_mul_f32 v[70:71], v[38:39], s[10:11] op_sel:[1,0]
	v_pk_mul_f32 v[72:73], v[14:15], s[18:19] op_sel:[1,0]
	v_pk_mul_f32 v[76:77], v[38:39], s[22:23] op_sel_hi:[0,1]
	v_pk_mul_f32 v[78:79], v[14:15], s[24:25] op_sel_hi:[0,1]
	v_add_f32_e32 v6, v41, v6
	s_mov_b32 s21, 0xbf0a6770
	v_pk_fma_f32 v[74:75], v[38:39], s[10:11], v[72:73] op_sel:[1,0,0]
	v_mov_b32_e32 v80, v77
	v_mov_b32_e32 v81, v71
	;; [unrolled: 1-line block ×6, first 2 shown]
	v_pk_fma_f32 v[72:73], v[38:39], s[22:23], v[78:79] op_sel_hi:[0,1,1]
	s_mov_b32 s22, s6
	s_mov_b32 s23, s14
	v_add_f32_e32 v62, v40, v6
	v_pk_mul_f32 v[40:41], v[36:37], s[20:21] op_sel:[1,0]
	v_mov_b32_e32 v82, v79
	v_pk_add_f32 v[70:71], v[76:77], v[70:71] neg_lo:[0,1] neg_hi:[0,1]
	v_pk_mul_f32 v[76:77], v[44:45], s[22:23] op_sel_hi:[0,1]
	v_pk_add_f32 v[80:81], v[80:81], v[82:83] neg_lo:[0,1] neg_hi:[0,1]
	v_mov_b32_e32 v78, v65
	v_mov_b32_e32 v79, v77
	;; [unrolled: 1-line block ×5, first 2 shown]
	v_pk_add_f32 v[54:55], v[2:3], v[44:45]
	v_add_f32_e32 v3, v61, v25
	v_pk_add_f32 v[78:79], v[78:79], v[82:83] neg_lo:[0,1] neg_hi:[0,1]
	v_add_f32_e32 v60, v60, v3
	v_add_f32_e32 v3, v79, v1
	v_mov_b32_e32 v65, v76
	v_mov_b32_e32 v67, v40
	v_pk_add_f32 v[64:65], v[64:65], v[66:67] neg_lo:[0,1] neg_hi:[0,1]
	v_add_f32_e32 v3, v78, v3
	v_add_f32_e32 v6, v65, v1
	v_pk_fma_f32 v[40:41], v[44:45], s[22:23], v[40:41] op_sel_hi:[0,1,1]
	v_add_f32_e32 v3, v81, v3
	s_mov_b32 s22, s17
	s_mov_b32 s23, s19
	;; [unrolled: 1-line block ×3, first 2 shown]
	v_pk_add_f32 v[40:41], v[40:41], v[0:1] op_sel:[0,1]
	v_add_f32_e32 v6, v64, v6
	v_add_f32_e32 v63, v80, v3
	v_pk_mul_f32 v[64:65], v[36:37], s[22:23] op_sel:[1,0]
	s_mov_b32 s26, s11
	s_mov_b32 s27, s15
	v_pk_mul_f32 v[66:67], v[36:37], s[24:25] op_sel_hi:[0,1]
	v_mov_b32_e32 v3, v2
	v_mov_b32_e32 v52, 0xbf27a4f4
	v_pk_add_f32 v[40:41], v[68:69], v[40:41]
	v_pk_fma_f32 v[68:69], v[48:49], s[26:27], v[66:67] op_sel:[1,0,0] neg_lo:[0,0,1] neg_hi:[0,0,1]
	v_pk_fma_f32 v[48:49], v[48:49], s[26:27], v[66:67] op_sel:[1,0,0]
	s_mov_b32 s26, s21
	s_mov_b32 s27, s16
	v_pk_add_f32 v[54:55], v[54:55], v[2:3]
	v_fma_f32 v3, v44, s11, -v65
	v_pk_mul_f32 v[56:57], v[52:53], v[44:45]
	v_add_f32_e32 v6, v71, v6
	s_mov_b32 s24, s14
	s_mov_b32 s25, s6
	v_pk_mul_f32 v[66:67], v[14:15], s[26:27] op_sel:[1,0]
	s_mov_b32 s20, s13
	v_add_f32_e32 v3, v3, v1
	v_mul_f32_e32 v57, 0xbe11bafb, v44
	v_pk_add_f32 v[40:41], v[74:75], v[40:41]
	v_add_f32_e32 v61, v70, v6
	v_pk_fma_f32 v[70:71], v[38:39], s[24:25], v[66:67] op_sel:[1,0,0] neg_lo:[0,0,1] neg_hi:[0,0,1]
	v_pk_fma_f32 v[66:67], v[38:39], s[24:25], v[66:67] op_sel:[1,0,0]
	s_mov_b32 s24, s15
	s_mov_b32 s25, s14
	v_pk_mul_f32 v[14:15], v[14:15], s[20:21] op_sel_hi:[0,1]
	v_add_f32_e32 v3, v69, v3
	v_pk_add_f32 v[40:41], v[72:73], v[40:41]
	v_pk_fma_f32 v[72:73], v[38:39], s[24:25], v[14:15] op_sel_hi:[0,1,1] neg_lo:[0,0,1] neg_hi:[0,0,1]
	v_pk_fma_f32 v[52:53], v[52:53], v[44:45], v[64:65] neg_lo:[0,0,1] neg_hi:[0,0,1]
	v_pk_fma_f32 v[36:37], v[36:37], s[22:23], v[56:57] op_sel:[1,0,0]
	v_add_f32_e32 v3, v71, v3
	v_mov_b32_e32 v58, v1
	v_mov_b32_e32 v53, v55
	;; [unrolled: 1-line block ×3, first 2 shown]
	v_pk_add_f32 v[0:1], v[36:37], v[0:1] op_sel:[0,1]
	v_add_f32_e32 v6, v73, v3
	v_mov_b32_e32 v3, v8
	v_mov_b32_e32 v5, v10
	v_pk_add_f32 v[0:1], v[48:49], v[0:1]
	v_pk_add_f32 v[10:11], v[2:3], v[4:5]
	v_pk_add_f32 v[2:3], v[2:3], v[4:5] neg_lo:[0,1] neg_hi:[0,1]
	v_pk_add_f32 v[0:1], v[66:67], v[0:1]
	v_pk_fma_f32 v[14:15], v[38:39], s[24:25], v[14:15] op_sel_hi:[0,1,1]
	v_mov_b32_e32 v5, v3
	v_pk_mul_f32 v[38:39], v[2:3], s[12:13] op_sel:[1,0]
	v_pk_mul_f32 v[2:3], v[2:3], s[16:17] op_sel:[1,0]
	v_mov_b32_e32 v59, v4
	v_pk_add_f32 v[0:1], v[14:15], v[0:1]
	v_mov_b32_e32 v4, v10
	v_pk_fma_f32 v[36:37], v[10:11], s[6:7], v[2:3] op_sel_hi:[0,1,1] neg_lo:[0,0,1] neg_hi:[0,0,1]
	v_pk_fma_f32 v[2:3], v[10:11], s[6:7], v[2:3] op_sel_hi:[0,1,1]
	s_mov_b32 s18, s11
	v_pk_add_f32 v[52:53], v[58:59], v[52:53]
	v_mov_b32_e32 v54, v68
	v_pk_mul_f32 v[14:15], v[10:11], s[14:15] op_sel_hi:[0,1]
	v_pk_add_f32 v[44:45], v[2:3], v[0:1]
	v_pk_mul_f32 v[0:1], v[4:5], s[18:19]
	v_pk_add_f32 v[52:53], v[54:55], v[52:53]
	v_mov_b32_e32 v54, v70
	v_mov_b32_e32 v55, v12
	;; [unrolled: 1-line block ×4, first 2 shown]
	v_pk_add_f32 v[52:53], v[54:55], v[52:53]
	v_mov_b32_e32 v12, v72
	v_pk_fma_f32 v[8:9], v[10:11], s[14:15], v[38:39] op_sel_hi:[0,1,1]
	v_pk_fma_f32 v[48:49], v[10:11], s[14:15], v[38:39] op_sel_hi:[0,1,1] neg_lo:[0,0,1] neg_hi:[0,0,1]
	v_mov_b32_e32 v38, v1
	v_pk_fma_f32 v[0:1], v[4:5], s[18:19], v[0:1]
	v_pk_add_f32 v[12:13], v[12:13], v[52:53]
	v_pk_add_f32 v[8:9], v[8:9], v[40:41]
	v_add_f32_e32 v41, v37, v6
	v_mov_b32_e32 v37, v7
	v_pk_add_f32 v[2:3], v[14:15], v[38:39] neg_lo:[0,1] neg_hi:[0,1]
	v_mov_b32_e32 v1, v48
	v_pk_add_f32 v[36:37], v[36:37], v[12:13]
	v_pk_add_f32 v[38:39], v[2:3], v[62:63]
	;; [unrolled: 1-line block ×3, first 2 shown]
	s_waitcnt lgkmcnt(0)
	; wave barrier
	s_waitcnt lgkmcnt(0)
	ds_write2_b32 v42, v37, v39 offset1:1
	ds_write2_b32 v42, v49, v41 offset0:2 offset1:3
	ds_write2_b32 v42, v36, v38 offset0:4 offset1:5
	ds_write_b32 v42, v48 offset:24
	ds_write2_b32 v42, v44, v45 offset0:7 offset1:8
	ds_write2_b32 v42, v8, v9 offset0:9 offset1:10
	s_waitcnt lgkmcnt(0)
	; wave barrier
	s_waitcnt lgkmcnt(0)
                                        ; implicit-def: $vgpr54_vgpr55
	s_and_saveexec_b64 s[6:7], s[2:3]
	s_xor_b64 s[2:3], exec, s[6:7]
; %bb.16:
	v_mov_b32_e32 v40, v44
	v_mov_b64_e32 v[54:55], v[8:9]
                                        ; implicit-def: $vgpr31
                                        ; implicit-def: $vgpr43
; %bb.17:
	s_or_saveexec_b64 s[2:3], s[2:3]
                                        ; implicit-def: $vgpr46
                                        ; implicit-def: $vgpr52
                                        ; implicit-def: $vgpr42
	s_xor_b64 exec, exec, s[2:3]
	s_cbranch_execz .LBB0_20
; %bb.18:
	v_add3_u32 v5, 0, v43, v31
	v_add3_u32 v4, 0, v31, v43
	ds_read2_b32 v[0:1], v5 offset0:11 offset1:22
	ds_read2_b32 v[2:3], v5 offset0:33 offset1:44
	;; [unrolled: 1-line block ×7, first 2 shown]
	ds_read_b32 v37, v4
	ds_read_b32 v46, v5 offset:660
	s_waitcnt lgkmcnt(6)
	v_mov_b32_e32 v48, v39
	v_mov_b32_e32 v49, v1
	s_waitcnt lgkmcnt(2)
	v_mov_b32_e32 v54, v43
	v_mov_b32_e32 v55, v9
	v_mov_b32_e32 v44, v53
	v_mov_b32_e32 v45, v41
	v_mov_b32_e32 v41, v2
	v_mov_b32_e32 v39, v0
	v_mov_b32_e32 v36, v3
	s_or_b64 exec, exec, s[2:3]
	s_and_b64 s[0:1], vcc, s[0:1]
	s_and_saveexec_b64 s[2:3], s[0:1]
	s_cbranch_execnz .LBB0_21
.LBB0_19:
	s_endpgm
.LBB0_20:
	s_or_b64 exec, exec, s[2:3]
	s_and_b64 s[0:1], vcc, s[0:1]
	s_and_saveexec_b64 s[2:3], s[0:1]
	s_cbranch_execz .LBB0_19
.LBB0_21:
	v_mul_u32_u24_e32 v0, 15, v47
	v_lshlrev_b32_e32 v31, 3, v0
	global_load_dwordx4 v[4:7], v31, s[4:5] offset:16
	global_load_dwordx4 v[0:3], v31, s[4:5]
	global_load_dwordx4 v[74:77], v31, s[4:5] offset:32
	v_mov_b32_e32 v43, v8
	global_load_dwordx4 v[8:11], v31, s[4:5] offset:64
	global_load_dwordx4 v[78:81], v31, s[4:5] offset:96
	;; [unrolled: 1-line block ×4, first 2 shown]
	v_mov_b32_e32 v25, v50
	v_mad_u64_u32 v[50:51], s[0:1], s8, v47, 0
	v_add_u32_e32 v89, 44, v47
	v_add_u32_e32 v91, 55, v47
	v_mov_b32_e32 v64, v51
	v_mad_u64_u32 v[70:71], s[0:1], s8, v89, 0
	v_mad_u64_u32 v[68:69], s[0:1], s8, v91, 0
	;; [unrolled: 1-line block ×3, first 2 shown]
	v_mov_b32_e32 v51, v64
	v_mov_b32_e32 v64, v71
	;; [unrolled: 1-line block ×3, first 2 shown]
	v_mad_u64_u32 v[64:65], s[0:1], s9, v89, v[64:65]
	v_mad_u64_u32 v[88:89], s[0:1], s9, v91, v[88:89]
	v_mov_b32_e32 v69, v88
	global_load_dwordx2 v[88:89], v31, s[4:5] offset:112
	v_add_u32_e32 v33, 11, v47
	v_add_u32_e32 v53, 22, v47
	;; [unrolled: 1-line block ×3, first 2 shown]
	v_mad_u64_u32 v[58:59], s[0:1], s8, v33, 0
	v_mad_u64_u32 v[56:57], s[0:1], s8, v53, 0
	v_add_u32_e32 v92, 0x42, v47
	v_mad_u64_u32 v[66:67], s[0:1], s8, v87, 0
	v_mov_b32_e32 v82, v59
	v_mov_b32_e32 v84, v57
	v_mad_u64_u32 v[72:73], s[0:1], s8, v92, 0
	v_mov_b32_e32 v86, v67
	v_mad_u64_u32 v[82:83], s[0:1], s9, v33, v[82:83]
	v_mad_u64_u32 v[84:85], s[0:1], s9, v53, v[84:85]
	v_add_u32_e32 v33, 0x58, v47
	v_add_u32_e32 v94, 0x4d, v47
	v_mad_u64_u32 v[86:87], s[0:1], s9, v87, v[86:87]
	v_mov_b32_e32 v90, v73
	v_mov_b32_e32 v57, v84
	v_mad_u64_u32 v[84:85], s[0:1], s8, v33, 0
	v_mad_u64_u32 v[90:91], s[0:1], s9, v92, v[90:91]
	;; [unrolled: 1-line block ×3, first 2 shown]
	v_mov_b32_e32 v67, v86
	v_mov_b32_e32 v86, v85
	;; [unrolled: 1-line block ×4, first 2 shown]
	v_mad_u64_u32 v[86:87], s[0:1], s9, v33, v[86:87]
	v_add_u32_e32 v33, 0x63, v47
	v_mad_u64_u32 v[82:83], s[0:1], s9, v94, v[82:83]
	v_mad_u64_u32 v[94:95], s[0:1], s8, v33, 0
	v_mov_b32_e32 v71, v64
	v_mov_b32_e32 v64, v95
	v_mad_u64_u32 v[64:65], s[0:1], s9, v33, v[64:65]
	v_add_u32_e32 v33, 0x6e, v47
	v_mov_b32_e32 v93, v82
	v_mad_u64_u32 v[82:83], s[0:1], s8, v33, 0
	v_mov_b32_e32 v95, v64
	v_mov_b32_e32 v64, v83
	v_mad_u64_u32 v[64:65], s[0:1], s9, v33, v[64:65]
	v_add_u32_e32 v33, 0x79, v47
	v_mov_b32_e32 v85, v86
	v_mad_u64_u32 v[86:87], s[0:1], s8, v33, 0
	v_mov_b32_e32 v83, v64
	v_mov_b32_e32 v64, v87
	v_mad_u64_u32 v[64:65], s[0:1], s9, v33, v[64:65]
	s_waitcnt vmcnt(6)
	v_mov_b32_e32 v65, v2
	s_waitcnt vmcnt(5)
	v_mov_b32_e32 v2, v77
	v_mov_b32_e32 v87, v64
	;; [unrolled: 1-line block ×3, first 2 shown]
	v_pk_mul_f32 v[76:77], v[26:27], v[2:3]
	v_pk_mul_f32 v[2:3], v[48:49], v[2:3]
	v_mov_b32_e32 v73, v90
	v_pk_fma_f32 v[90:91], v[26:27], v[64:65], v[2:3]
	s_waitcnt vmcnt(4)
	v_mov_b32_e32 v3, v10
	s_waitcnt vmcnt(3)
	v_mov_b32_e32 v10, v81
	v_mov_b32_e32 v2, v80
	v_pk_mul_f32 v[26:27], v[34:35], v[10:11]
	v_pk_mul_f32 v[10:11], v[54:55], v[10:11]
	v_pk_fma_f32 v[80:81], v[54:55], v[2:3], v[26:27] neg_lo:[0,0,1] neg_hi:[0,0,1]
	v_pk_fma_f32 v[96:97], v[34:35], v[2:3], v[10:11]
	s_waitcnt vmcnt(1)
	v_mov_b32_e32 v3, v62
	v_mov_b32_e32 v62, v15
	;; [unrolled: 1-line block ×3, first 2 shown]
	v_pk_mul_f32 v[10:11], v[28:29], v[62:63]
	v_add_u32_e32 v33, 0x84, v47
	v_pk_fma_f32 v[98:99], v[44:45], v[2:3], v[10:11] neg_lo:[0,0,1] neg_hi:[0,0,1]
	v_pk_mul_f32 v[10:11], v[44:45], v[62:63]
	v_mov_b32_e32 v103, v4
	v_pk_fma_f32 v[100:101], v[28:29], v[2:3], v[10:11]
	v_mad_u64_u32 v[10:11], s[0:1], s8, v33, 0
	v_mov_b32_e32 v2, v11
	v_mad_u64_u32 v[2:3], s[0:1], s9, v33, v[2:3]
	v_add_u32_e32 v3, 0x8f, v47
	v_mad_u64_u32 v[14:15], s[0:1], s8, v3, 0
	v_mov_b32_e32 v11, v2
	v_mov_b32_e32 v2, v15
	v_mad_u64_u32 v[2:3], s[0:1], s9, v3, v[2:3]
	v_add_u32_e32 v3, 0x9a, v47
	v_mov_b32_e32 v4, v61
	v_mad_u64_u32 v[26:27], s[0:1], s8, v3, 0
	v_lshl_add_u64 v[62:63], v[58:59], 3, v[16:17]
	v_lshl_add_u64 v[58:59], v[66:67], 3, v[16:17]
	v_mul_f32_e32 v66, v36, v7
	v_mul_f32_e32 v7, v18, v7
	v_pk_fma_f32 v[76:77], v[48:49], v[64:65], v[76:77] neg_lo:[0,0,1] neg_hi:[0,0,1]
	v_mov_b32_e32 v102, v60
	v_mov_b32_e32 v15, v2
	;; [unrolled: 1-line block ×3, first 2 shown]
	v_fma_f32 v36, v36, v6, -v7
	v_fmac_f32_e32 v66, v18, v6
	v_pk_mul_f32 v[6:7], v[22:23], v[4:5]
	v_mad_u64_u32 v[2:3], s[0:1], s9, v3, v[2:3]
	v_pk_mul_f32 v[4:5], v[40:41], v[4:5]
	v_pk_fma_f32 v[6:7], v[40:41], v[102:103], v[6:7] neg_lo:[0,0,1] neg_hi:[0,0,1]
	v_mov_b32_e32 v31, v32
	v_pk_add_f32 v[32:33], v[76:77], v[80:81] neg_lo:[0,1] neg_hi:[0,1]
	v_pk_add_f32 v[40:41], v[90:91], v[96:97] neg_lo:[0,1] neg_hi:[0,1]
	v_add_u32_e32 v3, 0xa5, v47
	v_mov_b32_e32 v47, v52
	v_pk_fma_f32 v[4:5], v[22:23], v[102:103], v[4:5]
	v_pk_add_f32 v[22:23], v[32:33], v[40:41] op_sel:[0,1] op_sel_hi:[1,0]
	v_pk_add_f32 v[52:53], v[32:33], v[40:41] op_sel:[0,1] op_sel_hi:[1,0] neg_lo:[0,1] neg_hi:[0,1]
	v_mad_u64_u32 v[104:105], s[0:1], s8, v3, 0
	v_mov_b32_e32 v23, v53
	v_mov_b32_e32 v53, v12
	s_waitcnt vmcnt(0)
	v_mov_b32_e32 v12, v89
	v_mov_b32_e32 v67, v19
	;; [unrolled: 1-line block ×4, first 2 shown]
	v_lshl_add_u64 v[64:65], v[50:51], 3, v[16:17]
	v_lshl_add_u64 v[54:55], v[68:69], 3, v[16:17]
	;; [unrolled: 1-line block ×3, first 2 shown]
	v_mov_b32_e32 v52, v88
	v_pk_mul_f32 v[68:69], v[30:31], v[12:13]
	s_waitcnt lgkmcnt(0)
	v_pk_mul_f32 v[12:13], v[46:47], v[12:13]
	v_pk_add_f32 v[72:73], v[36:37], v[98:99] neg_lo:[0,1] neg_hi:[0,1]
	v_pk_add_f32 v[80:81], v[66:67], v[100:101] neg_lo:[0,1] neg_hi:[0,1]
	v_mad_u64_u32 v[2:3], s[0:1], s9, v3, v[2:3]
	v_pk_fma_f32 v[46:47], v[46:47], v[52:53], v[68:69] neg_lo:[0,0,1] neg_hi:[0,0,1]
	v_pk_add_f32 v[68:69], v[72:73], v[80:81] op_sel:[0,1] op_sel_hi:[1,0]
	v_pk_fma_f32 v[12:13], v[30:31], v[52:53], v[12:13]
	v_pk_add_f32 v[30:31], v[72:73], v[80:81] op_sel:[0,1] op_sel_hi:[1,0] neg_lo:[0,1] neg_hi:[0,1]
	s_mov_b32 s0, 0x3f3504f3
	v_mov_b32_e32 v69, v31
	v_lshl_add_u64 v[60:61], v[56:57], 3, v[16:17]
	v_lshl_add_u64 v[56:57], v[70:71], 3, v[16:17]
	v_pk_mul_f32 v[70:71], v[22:23], s[0:1] op_sel_hi:[1,0]
	v_pk_fma_f32 v[52:53], v[22:23], s[0:1], v[68:69] op_sel_hi:[1,0,1]
	v_lshl_add_u64 v[34:35], v[82:83], 3, v[16:17]
	v_pk_add_f32 v[82:83], v[52:53], v[70:71] op_sel:[0,1] op_sel_hi:[1,0]
	v_pk_add_f32 v[52:53], v[52:53], v[70:71] op_sel:[0,1] op_sel_hi:[1,0] neg_lo:[0,1] neg_hi:[0,1]
	v_mov_b32_e32 v71, v0
	v_mov_b32_e32 v0, v75
	v_lshl_add_u64 v[48:49], v[84:85], 3, v[16:17]
	v_pk_mul_f32 v[84:85], v[20:21], v[0:1]
	v_pk_mul_f32 v[0:1], v[38:39], v[0:1]
	v_mov_b32_e32 v70, v74
	v_pk_add_f32 v[46:47], v[6:7], v[46:47] neg_lo:[0,1] neg_hi:[0,1]
	v_pk_add_f32 v[12:13], v[4:5], v[12:13] neg_lo:[0,1] neg_hi:[0,1]
	v_pk_fma_f32 v[38:39], v[38:39], v[70:71], v[84:85] neg_lo:[0,0,1] neg_hi:[0,0,1]
	v_pk_fma_f32 v[0:1], v[20:21], v[70:71], v[0:1]
	v_pk_add_f32 v[20:21], v[46:47], v[12:13] op_sel:[0,1] op_sel_hi:[1,0]
	v_pk_add_f32 v[70:71], v[46:47], v[12:13] op_sel:[0,1] op_sel_hi:[1,0] neg_lo:[0,1] neg_hi:[0,1]
	v_fma_f32 v88, v31, 2.0, -v53
	v_mov_b32_e32 v21, v71
	v_mov_b32_e32 v71, v8
	;; [unrolled: 1-line block ×3, first 2 shown]
	v_pk_mul_f32 v[74:75], v[24:25], v[8:9]
	v_pk_mul_f32 v[8:9], v[42:43], v[8:9]
	v_mov_b32_e32 v70, v78
	v_pk_fma_f32 v[42:43], v[42:43], v[70:71], v[74:75] neg_lo:[0,0,1] neg_hi:[0,0,1]
	v_pk_fma_f32 v[8:9], v[24:25], v[70:71], v[8:9]
	v_pk_add_f32 v[42:43], v[38:39], v[42:43] neg_lo:[0,1] neg_hi:[0,1]
	v_pk_add_f32 v[8:9], v[0:1], v[8:9] neg_lo:[0,1] neg_hi:[0,1]
	v_pk_mul_f32 v[74:75], v[20:21], s[0:1] op_sel_hi:[1,0]
	v_pk_add_f32 v[24:25], v[42:43], v[8:9] op_sel:[0,1] op_sel_hi:[1,0]
	v_pk_add_f32 v[70:71], v[42:43], v[8:9] op_sel:[0,1] op_sel_hi:[1,0] neg_lo:[0,1] neg_hi:[0,1]
	v_mov_b32_e32 v83, v53
	v_mov_b32_e32 v25, v71
	v_pk_fma_f32 v[30:31], v[20:21], s[0:1], v[24:25] op_sel_hi:[1,0,1]
	s_mov_b32 s2, 0x3ec3ef15
	v_pk_add_f32 v[52:53], v[30:31], v[74:75] op_sel:[0,1] op_sel_hi:[1,0]
	v_pk_add_f32 v[30:31], v[30:31], v[74:75] op_sel:[0,1] op_sel_hi:[1,0] neg_lo:[0,1] neg_hi:[0,1]
	s_mov_b32 s4, 0x3f6c835e
	v_mov_b32_e32 v53, v31
	v_pk_mul_f32 v[74:75], v[52:53], s[2:3] op_sel_hi:[1,0]
	v_pk_fma_f32 v[78:79], v[52:53], s[4:5], v[82:83] op_sel_hi:[1,0,1]
	v_fma_f32 v53, v71, 2.0, -v31
	v_mov_b32_e32 v30, v77
	v_mov_b32_e32 v31, v37
	;; [unrolled: 1-line block ×6, first 2 shown]
	v_pk_fma_f32 v[30:31], v[30:31], 2.0, v[70:71] op_sel_hi:[1,0,1] neg_lo:[0,0,1] neg_hi:[0,0,1]
	v_mov_b32_e32 v70, v81
	v_mov_b32_e32 v71, v41
	;; [unrolled: 1-line block ×6, first 2 shown]
	v_pk_fma_f32 v[18:19], v[18:19], 2.0, v[70:71] op_sel_hi:[1,0,1] neg_lo:[0,0,1] neg_hi:[0,0,1]
	v_mov_b32_e32 v70, v80
	v_mov_b32_e32 v71, v40
	v_pk_fma_f32 v[36:37], v[76:77], 2.0, v[36:37] op_sel_hi:[1,0,1] neg_lo:[0,0,1] neg_hi:[0,0,1]
	v_pk_fma_f32 v[66:67], v[66:67], 2.0, v[70:71] op_sel_hi:[1,0,1] neg_lo:[0,0,1] neg_hi:[0,0,1]
	v_pk_add_f32 v[84:85], v[78:79], v[74:75] op_sel:[0,1] op_sel_hi:[1,0]
	v_pk_add_f32 v[74:75], v[78:79], v[74:75] op_sel:[0,1] op_sel_hi:[1,0] neg_lo:[0,1] neg_hi:[0,1]
	v_pk_add_f32 v[36:37], v[30:31], v[36:37] neg_lo:[0,1] neg_hi:[0,1]
	v_pk_add_f32 v[66:67], v[18:19], v[66:67] neg_lo:[0,1] neg_hi:[0,1]
	v_mov_b32_e32 v85, v75
	v_pk_add_f32 v[70:71], v[36:37], v[66:67]
	v_pk_add_f32 v[74:75], v[36:37], v[66:67] neg_lo:[0,1] neg_hi:[0,1]
	v_mov_b32_e32 v76, v47
	v_mov_b32_e32 v71, v75
	;; [unrolled: 1-line block ×7, first 2 shown]
	v_pk_fma_f32 v[6:7], v[6:7], 2.0, v[38:39] op_sel_hi:[1,0,1] neg_lo:[0,0,1] neg_hi:[0,0,1]
	v_mov_b32_e32 v38, v1
	v_mov_b32_e32 v39, v5
	v_mov_b32_e32 v1, v4
	v_mov_b32_e32 v4, v8
	v_mov_b32_e32 v5, v12
	v_fma_f32 v8, v24, 2.0, -v52
	v_fma_f32 v12, v68, 2.0, -v82
	v_fmamk_f32 v40, v8, 0xbec3ef15, v12
	v_mov_b32_e32 v77, v43
	v_mov_b32_e32 v32, v41
	v_fmamk_f32 v41, v53, 0xbec3ef15, v88
	v_fmac_f32_e32 v40, 0x3f6c835e, v53
	v_mov_b32_e32 v72, v81
	v_mov_b32_e32 v46, v13
	;; [unrolled: 1-line block ×3, first 2 shown]
	v_pk_fma_f32 v[74:75], v[74:75], 2.0, v[76:77] op_sel_hi:[1,0,1] neg_lo:[0,0,1] neg_hi:[0,0,1]
	v_mov_b32_e32 v76, v9
	v_mov_b32_e32 v77, v13
	v_fmac_f32_e32 v41, 0xbf6c835e, v8
	v_fma_f32 v52, v12, 2.0, -v40
	v_pk_fma_f32 v[22:23], v[32:33], 2.0, v[22:23] op_sel_hi:[1,0,1] neg_lo:[0,0,1] neg_hi:[0,0,1]
	v_pk_fma_f32 v[68:69], v[72:73], 2.0, v[68:69] op_sel_hi:[1,0,1] neg_lo:[0,0,1] neg_hi:[0,0,1]
	;; [unrolled: 1-line block ×4, first 2 shown]
	v_pk_mul_f32 v[32:33], v[22:23], s[0:1] op_sel_hi:[1,0]
	v_pk_fma_f32 v[22:23], v[22:23], s[0:1], v[68:69] op_sel_hi:[1,0,1] neg_lo:[1,0,0] neg_hi:[1,0,0]
	v_pk_mul_f32 v[20:21], v[12:13], s[0:1] op_sel_hi:[1,0]
	v_pk_fma_f32 v[12:13], v[12:13], s[0:1], v[8:9] op_sel_hi:[1,0,1] neg_lo:[1,0,0] neg_hi:[1,0,0]
	v_pk_add_f32 v[72:73], v[22:23], v[32:33] op_sel:[0,1] op_sel_hi:[1,0]
	v_pk_add_f32 v[22:23], v[22:23], v[32:33] op_sel:[0,1] op_sel_hi:[1,0] neg_lo:[0,1] neg_hi:[0,1]
	v_pk_add_f32 v[24:25], v[12:13], v[20:21] op_sel:[0,1] op_sel_hi:[1,0]
	v_pk_add_f32 v[12:13], v[12:13], v[20:21] op_sel:[0,1] op_sel_hi:[1,0] neg_lo:[0,1] neg_hi:[0,1]
	v_mov_b32_e32 v73, v23
	v_mov_b32_e32 v25, v13
	v_pk_mul_f32 v[20:21], v[24:25], s[4:5] op_sel_hi:[1,0]
	v_pk_fma_f32 v[32:33], v[24:25], s[2:3], v[72:73] op_sel_hi:[1,0,1]
	v_fma_f32 v12, v69, 2.0, -v23
	v_pk_add_f32 v[42:43], v[32:33], v[20:21] op_sel:[0,1] op_sel_hi:[1,0]
	v_pk_add_f32 v[20:21], v[32:33], v[20:21] op_sel:[0,1] op_sel_hi:[1,0] neg_lo:[0,1] neg_hi:[0,1]
	v_fma_f32 v8, v8, 2.0, -v24
	v_fma_f32 v20, v9, 2.0, -v13
	v_fmamk_f32 v9, v20, 0xbf6c835e, v12
	v_fmac_f32_e32 v9, 0xbec3ef15, v8
	v_fma_f32 v13, v12, 2.0, -v9
	v_fma_f32 v12, v68, 2.0, -v72
	v_pk_fma_f32 v[38:39], v[38:39], 2.0, v[76:77] op_sel_hi:[1,0,1] neg_lo:[0,0,1] neg_hi:[0,0,1]
	v_pk_fma_f32 v[0:1], v[0:1], 2.0, v[4:5] op_sel_hi:[1,0,1] neg_lo:[0,0,1] neg_hi:[0,0,1]
	v_fmamk_f32 v8, v8, 0xbf6c835e, v12
	v_pk_add_f32 v[6:7], v[74:75], v[6:7] neg_lo:[0,1] neg_hi:[0,1]
	v_pk_add_f32 v[0:1], v[38:39], v[0:1] neg_lo:[0,1] neg_hi:[0,1]
	v_fmac_f32_e32 v8, 0x3ec3ef15, v20
	v_mov_b32_e32 v20, v18
	v_mov_b32_e32 v18, v19
	v_mov_b32_e32 v19, v30
	v_mov_b32_e32 v24, v67
	v_mov_b32_e32 v25, v36
	v_pk_add_f32 v[4:5], v[6:7], v[0:1]
	v_pk_add_f32 v[76:77], v[6:7], v[0:1] neg_lo:[0,1] neg_hi:[0,1]
	v_mov_b32_e32 v43, v21
	v_mov_b32_e32 v21, v31
	v_pk_fma_f32 v[18:19], v[18:19], 2.0, v[24:25] op_sel_hi:[1,0,1] neg_lo:[0,0,1] neg_hi:[0,0,1]
	v_mov_b32_e32 v24, v75
	v_mov_b32_e32 v25, v38
	v_mov_b32_e32 v30, v7
	v_mov_b32_e32 v31, v0
	v_mov_b32_e32 v5, v77
	v_mov_b32_e32 v22, v66
	v_mov_b32_e32 v23, v37
	v_pk_fma_f32 v[24:25], v[24:25], 2.0, v[30:31] op_sel_hi:[1,0,1] neg_lo:[0,0,1] neg_hi:[0,0,1]
	v_mov_b32_e32 v31, v1
	v_mov_b32_e32 v1, v7
	v_pk_fma_f32 v[20:21], v[20:21], 2.0, v[22:23] op_sel_hi:[1,0,1] neg_lo:[0,0,1] neg_hi:[0,0,1]
	v_mov_b32_e32 v75, v39
	v_mov_b32_e32 v30, v6
	v_pk_fma_f32 v[22:23], v[22:23], 2.0, v[70:71] op_sel_hi:[1,0,1] neg_lo:[0,0,1] neg_hi:[0,0,1]
	v_pk_fma_f32 v[0:1], v[0:1], 2.0, v[4:5] op_sel_hi:[1,0,1] neg_lo:[0,0,1] neg_hi:[0,0,1]
	v_pk_mul_f32 v[76:77], v[4:5], s[0:1] op_sel_hi:[1,0]
	v_pk_fma_f32 v[78:79], v[4:5], s[0:1], v[70:71] op_sel_hi:[1,0,1]
	v_pk_fma_f32 v[30:31], v[74:75], 2.0, v[30:31] op_sel_hi:[1,0,1] neg_lo:[0,0,1] neg_hi:[0,0,1]
	v_pk_mul_f32 v[4:5], v[0:1], s[0:1] op_sel_hi:[1,0]
	v_pk_fma_f32 v[0:1], v[0:1], s[0:1], v[22:23] op_sel_hi:[1,0,1] neg_lo:[1,0,0] neg_hi:[1,0,0]
	v_pk_add_f32 v[18:19], v[20:21], v[18:19] neg_lo:[0,1] neg_hi:[0,1]
	v_pk_add_f32 v[30:31], v[24:25], v[30:31] neg_lo:[0,1] neg_hi:[0,1]
	v_pk_add_f32 v[6:7], v[0:1], v[4:5] op_sel:[0,1] op_sel_hi:[1,0]
	v_pk_add_f32 v[0:1], v[0:1], v[4:5] op_sel:[0,1] op_sel_hi:[1,0] neg_lo:[0,1] neg_hi:[0,1]
	v_pk_fma_f32 v[4:5], v[24:25], 2.0, v[30:31] op_sel_hi:[1,0,1] neg_lo:[0,0,1] neg_hi:[0,0,1]
	v_mov_b32_e32 v7, v1
	v_pk_fma_f32 v[0:1], v[20:21], 2.0, v[18:19] op_sel_hi:[1,0,1] neg_lo:[0,0,1] neg_hi:[0,0,1]
	v_pk_add_f32 v[32:33], v[18:19], v[30:31]
	v_pk_add_f32 v[4:5], v[0:1], v[4:5] op_sel:[0,1] op_sel_hi:[1,0] neg_lo:[0,1] neg_hi:[0,1]
	v_pk_add_f32 v[36:37], v[18:19], v[30:31] neg_lo:[0,1] neg_hi:[0,1]
	v_pk_fma_f32 v[0:1], v[0:1], 2.0, v[4:5] op_sel_hi:[1,0,1] neg_lo:[0,0,1] neg_hi:[0,0,1]
	v_fma_f32 v12, v12, 2.0, -v8
	v_mov_b32_e32 v33, v37
	global_store_dwordx2 v[64:65], v[0:1], off
	global_store_dwordx2 v[62:63], v[12:13], off
	v_pk_fma_f32 v[0:1], v[22:23], 2.0, v[6:7] op_sel_hi:[1,0,1] neg_lo:[0,0,1] neg_hi:[0,0,1]
	v_mov_b32_e32 v105, v2
	v_lshl_add_u64 v[2:3], v[86:87], 3, v[16:17]
	v_pk_add_f32 v[86:87], v[78:79], v[76:77] op_sel:[0,1] op_sel_hi:[1,0]
	v_pk_add_f32 v[76:77], v[78:79], v[76:77] op_sel:[0,1] op_sel_hi:[1,0] neg_lo:[0,1] neg_hi:[0,1]
	v_fma_f32 v53, v88, 2.0, -v41
	global_store_dwordx2 v[60:61], v[0:1], off
	global_store_dwordx2 v[58:59], v[52:53], off
	v_pk_fma_f32 v[0:1], v[18:19], 2.0, v[32:33] op_sel_hi:[1,0,1] neg_lo:[0,0,1] neg_hi:[0,0,1]
	v_mov_b32_e32 v87, v77
	global_store_dwordx2 v[56:57], v[0:1], off
	v_pk_fma_f32 v[0:1], v[72:73], 2.0, v[42:43] op_sel_hi:[1,0,1] neg_lo:[0,0,1] neg_hi:[0,0,1]
	global_store_dwordx2 v[54:55], v[0:1], off
	v_pk_fma_f32 v[0:1], v[70:71], 2.0, v[86:87] op_sel_hi:[1,0,1] neg_lo:[0,0,1] neg_hi:[0,0,1]
	v_lshl_add_u64 v[44:45], v[92:93], 3, v[16:17]
	global_store_dwordx2 v[50:51], v[0:1], off
	v_pk_fma_f32 v[0:1], v[82:83], 2.0, v[84:85] op_sel_hi:[1,0,1] neg_lo:[0,0,1] neg_hi:[0,0,1]
	v_lshl_add_u64 v[28:29], v[94:95], 3, v[16:17]
	v_lshl_add_u64 v[10:11], v[10:11], 3, v[16:17]
	v_lshl_add_u64 v[14:15], v[14:15], 3, v[16:17]
	v_lshl_add_u64 v[26:27], v[26:27], 3, v[16:17]
	v_lshl_add_u64 v[16:17], v[104:105], 3, v[16:17]
	global_store_dwordx2 v[44:45], v[0:1], off
	global_store_dwordx2 v[48:49], v[4:5], off
	global_store_dwordx2 v[28:29], v[8:9], off
	global_store_dwordx2 v[34:35], v[6:7], off
	global_store_dwordx2 v[2:3], v[40:41], off
	global_store_dwordx2 v[10:11], v[32:33], off
	global_store_dwordx2 v[14:15], v[42:43], off
	global_store_dwordx2 v[26:27], v[86:87], off
	global_store_dwordx2 v[16:17], v[84:85], off
	s_endpgm
	.section	.rodata,"a",@progbits
	.p2align	6, 0x0
	.amdhsa_kernel fft_rtc_back_len176_factors_11_16_wgs_64_tpt_16_halfLds_sp_ip_CI_sbrr_dirReg
		.amdhsa_group_segment_fixed_size 0
		.amdhsa_private_segment_fixed_size 0
		.amdhsa_kernarg_size 88
		.amdhsa_user_sgpr_count 2
		.amdhsa_user_sgpr_dispatch_ptr 0
		.amdhsa_user_sgpr_queue_ptr 0
		.amdhsa_user_sgpr_kernarg_segment_ptr 1
		.amdhsa_user_sgpr_dispatch_id 0
		.amdhsa_user_sgpr_kernarg_preload_length 0
		.amdhsa_user_sgpr_kernarg_preload_offset 0
		.amdhsa_user_sgpr_private_segment_size 0
		.amdhsa_uses_dynamic_stack 0
		.amdhsa_enable_private_segment 0
		.amdhsa_system_sgpr_workgroup_id_x 1
		.amdhsa_system_sgpr_workgroup_id_y 0
		.amdhsa_system_sgpr_workgroup_id_z 0
		.amdhsa_system_sgpr_workgroup_info 0
		.amdhsa_system_vgpr_workitem_id 0
		.amdhsa_next_free_vgpr 106
		.amdhsa_next_free_sgpr 28
		.amdhsa_accum_offset 108
		.amdhsa_reserve_vcc 1
		.amdhsa_float_round_mode_32 0
		.amdhsa_float_round_mode_16_64 0
		.amdhsa_float_denorm_mode_32 3
		.amdhsa_float_denorm_mode_16_64 3
		.amdhsa_dx10_clamp 1
		.amdhsa_ieee_mode 1
		.amdhsa_fp16_overflow 0
		.amdhsa_tg_split 0
		.amdhsa_exception_fp_ieee_invalid_op 0
		.amdhsa_exception_fp_denorm_src 0
		.amdhsa_exception_fp_ieee_div_zero 0
		.amdhsa_exception_fp_ieee_overflow 0
		.amdhsa_exception_fp_ieee_underflow 0
		.amdhsa_exception_fp_ieee_inexact 0
		.amdhsa_exception_int_div_zero 0
	.end_amdhsa_kernel
	.text
.Lfunc_end0:
	.size	fft_rtc_back_len176_factors_11_16_wgs_64_tpt_16_halfLds_sp_ip_CI_sbrr_dirReg, .Lfunc_end0-fft_rtc_back_len176_factors_11_16_wgs_64_tpt_16_halfLds_sp_ip_CI_sbrr_dirReg
                                        ; -- End function
	.section	.AMDGPU.csdata,"",@progbits
; Kernel info:
; codeLenInByte = 6920
; NumSgprs: 34
; NumVgprs: 106
; NumAgprs: 0
; TotalNumVgprs: 106
; ScratchSize: 0
; MemoryBound: 0
; FloatMode: 240
; IeeeMode: 1
; LDSByteSize: 0 bytes/workgroup (compile time only)
; SGPRBlocks: 4
; VGPRBlocks: 13
; NumSGPRsForWavesPerEU: 34
; NumVGPRsForWavesPerEU: 106
; AccumOffset: 108
; Occupancy: 4
; WaveLimiterHint : 1
; COMPUTE_PGM_RSRC2:SCRATCH_EN: 0
; COMPUTE_PGM_RSRC2:USER_SGPR: 2
; COMPUTE_PGM_RSRC2:TRAP_HANDLER: 0
; COMPUTE_PGM_RSRC2:TGID_X_EN: 1
; COMPUTE_PGM_RSRC2:TGID_Y_EN: 0
; COMPUTE_PGM_RSRC2:TGID_Z_EN: 0
; COMPUTE_PGM_RSRC2:TIDIG_COMP_CNT: 0
; COMPUTE_PGM_RSRC3_GFX90A:ACCUM_OFFSET: 26
; COMPUTE_PGM_RSRC3_GFX90A:TG_SPLIT: 0
	.text
	.p2alignl 6, 3212836864
	.fill 256, 4, 3212836864
	.type	__hip_cuid_a78601022d14b32b,@object ; @__hip_cuid_a78601022d14b32b
	.section	.bss,"aw",@nobits
	.globl	__hip_cuid_a78601022d14b32b
__hip_cuid_a78601022d14b32b:
	.byte	0                               ; 0x0
	.size	__hip_cuid_a78601022d14b32b, 1

	.ident	"AMD clang version 19.0.0git (https://github.com/RadeonOpenCompute/llvm-project roc-6.4.0 25133 c7fe45cf4b819c5991fe208aaa96edf142730f1d)"
	.section	".note.GNU-stack","",@progbits
	.addrsig
	.addrsig_sym __hip_cuid_a78601022d14b32b
	.amdgpu_metadata
---
amdhsa.kernels:
  - .agpr_count:     0
    .args:
      - .actual_access:  read_only
        .address_space:  global
        .offset:         0
        .size:           8
        .value_kind:     global_buffer
      - .offset:         8
        .size:           8
        .value_kind:     by_value
      - .actual_access:  read_only
        .address_space:  global
        .offset:         16
        .size:           8
        .value_kind:     global_buffer
      - .actual_access:  read_only
        .address_space:  global
        .offset:         24
        .size:           8
        .value_kind:     global_buffer
      - .offset:         32
        .size:           8
        .value_kind:     by_value
      - .actual_access:  read_only
        .address_space:  global
        .offset:         40
        .size:           8
        .value_kind:     global_buffer
      - .actual_access:  read_only
        .address_space:  global
        .offset:         48
        .size:           8
        .value_kind:     global_buffer
      - .offset:         56
        .size:           4
        .value_kind:     by_value
      - .actual_access:  read_only
        .address_space:  global
        .offset:         64
        .size:           8
        .value_kind:     global_buffer
      - .actual_access:  read_only
        .address_space:  global
        .offset:         72
        .size:           8
        .value_kind:     global_buffer
      - .address_space:  global
        .offset:         80
        .size:           8
        .value_kind:     global_buffer
    .group_segment_fixed_size: 0
    .kernarg_segment_align: 8
    .kernarg_segment_size: 88
    .language:       OpenCL C
    .language_version:
      - 2
      - 0
    .max_flat_workgroup_size: 64
    .name:           fft_rtc_back_len176_factors_11_16_wgs_64_tpt_16_halfLds_sp_ip_CI_sbrr_dirReg
    .private_segment_fixed_size: 0
    .sgpr_count:     34
    .sgpr_spill_count: 0
    .symbol:         fft_rtc_back_len176_factors_11_16_wgs_64_tpt_16_halfLds_sp_ip_CI_sbrr_dirReg.kd
    .uniform_work_group_size: 1
    .uses_dynamic_stack: false
    .vgpr_count:     106
    .vgpr_spill_count: 0
    .wavefront_size: 64
amdhsa.target:   amdgcn-amd-amdhsa--gfx950
amdhsa.version:
  - 1
  - 2
...

	.end_amdgpu_metadata
